;; amdgpu-corpus repo=ROCm/rocFFT kind=compiled arch=gfx950 opt=O3
	.text
	.amdgcn_target "amdgcn-amd-amdhsa--gfx950"
	.amdhsa_code_object_version 6
	.protected	bluestein_single_back_len1024_dim1_half_op_CI_CI ; -- Begin function bluestein_single_back_len1024_dim1_half_op_CI_CI
	.globl	bluestein_single_back_len1024_dim1_half_op_CI_CI
	.p2align	8
	.type	bluestein_single_back_len1024_dim1_half_op_CI_CI,@function
bluestein_single_back_len1024_dim1_half_op_CI_CI: ; @bluestein_single_back_len1024_dim1_half_op_CI_CI
; %bb.0:
	s_load_dwordx4 s[12:15], s[0:1], 0x28
	s_mov_b32 s3, 0
	s_waitcnt lgkmcnt(0)
	v_mov_b32_e32 v2, s12
	v_mov_b32_e32 v3, s13
	v_cmp_lt_u64_e32 vcc, s[2:3], v[2:3]
	s_and_saveexec_b64 s[4:5], vcc
	s_cbranch_execz .LBB0_2
; %bb.1:
	s_load_dwordx4 s[4:7], s[0:1], 0x18
	s_load_dwordx4 s[8:11], s[0:1], 0x0
	v_mov_b64_e32 v[24:25], s[2:3]
	v_mov_b32_e32 v2, s14
	v_mov_b32_e32 v3, s15
	s_waitcnt lgkmcnt(0)
	s_load_dwordx4 s[16:19], s[4:5], 0x0
	v_lshlrev_b32_e32 v22, 2, v0
	v_lshlrev_b32_e32 v26, 5, v0
	s_load_dwordx2 s[0:1], s[0:1], 0x38
	s_waitcnt lgkmcnt(0)
	v_mad_u64_u32 v[4:5], s[2:3], s18, v24, 0
	v_mov_b32_e32 v8, v5
	v_mad_u64_u32 v[6:7], s[2:3], s16, v0, 0
	v_mad_u64_u32 v[8:9], s[2:3], s19, v24, v[8:9]
	v_mov_b32_e32 v5, v8
	v_mov_b32_e32 v8, v7
	v_mad_u64_u32 v[8:9], s[2:3], s17, v0, v[8:9]
	v_mov_b32_e32 v7, v8
	v_lshl_add_u64 v[2:3], v[4:5], 2, v[2:3]
	v_lshl_add_u64 v[2:3], v[6:7], 2, v[2:3]
	s_lshl_b64 s[2:3], s[16:17], 9
	global_load_dword v4, v[2:3], off
	global_load_dword v29, v22, s[8:9]
	v_lshl_add_u64 v[2:3], v[2:3], 0, s[2:3]
	global_load_dword v5, v[2:3], off
	global_load_dword v28, v22, s[8:9] offset:512
	v_lshl_add_u64 v[2:3], v[2:3], 0, s[2:3]
	global_load_dword v6, v[2:3], off
	global_load_dword v25, v22, s[8:9] offset:1024
	;; [unrolled: 3-line block ×7, first 2 shown]
	s_load_dwordx4 s[4:7], s[6:7], 0x0
	s_mov_b32 s2, 0xb9a8
	s_movk_i32 s3, 0x39a8
	s_waitcnt vmcnt(15)
	v_lshrrev_b32_e32 v2, 16, v4
	s_waitcnt vmcnt(14)
	v_mul_f16_sdwa v3, v29, v4 dst_sel:DWORD dst_unused:UNUSED_PAD src0_sel:WORD_1 src1_sel:DWORD
	v_mul_f16_sdwa v14, v29, v2 dst_sel:DWORD dst_unused:UNUSED_PAD src0_sel:WORD_1 src1_sel:DWORD
	v_fma_f16 v2, v29, v2, -v3
	s_waitcnt vmcnt(13)
	v_lshrrev_b32_e32 v3, 16, v5
	s_waitcnt vmcnt(12)
	v_mul_f16_sdwa v15, v28, v5 dst_sel:DWORD dst_unused:UNUSED_PAD src0_sel:WORD_1 src1_sel:DWORD
	v_fma_f16 v4, v29, v4, v14
	v_mul_f16_sdwa v14, v28, v3 dst_sel:DWORD dst_unused:UNUSED_PAD src0_sel:WORD_1 src1_sel:DWORD
	v_fma_f16 v3, v28, v3, -v15
	s_waitcnt vmcnt(11)
	v_lshrrev_b32_e32 v15, 16, v6
	s_waitcnt vmcnt(10)
	v_mul_f16_sdwa v16, v25, v6 dst_sel:DWORD dst_unused:UNUSED_PAD src0_sel:WORD_1 src1_sel:DWORD
	v_pack_b32_f16 v2, v4, v2
	v_fma_f16 v4, v28, v5, v14
	v_mul_f16_sdwa v5, v25, v15 dst_sel:DWORD dst_unused:UNUSED_PAD src0_sel:WORD_1 src1_sel:DWORD
	v_fma_f16 v14, v25, v15, -v16
	s_waitcnt vmcnt(9)
	v_lshrrev_b32_e32 v15, 16, v7
	s_waitcnt vmcnt(8)
	v_mul_f16_sdwa v16, v21, v7 dst_sel:DWORD dst_unused:UNUSED_PAD src0_sel:WORD_1 src1_sel:DWORD
	v_pack_b32_f16 v3, v4, v3
	v_fma_f16 v4, v25, v6, v5
	v_mul_f16_sdwa v5, v21, v15 dst_sel:DWORD dst_unused:UNUSED_PAD src0_sel:WORD_1 src1_sel:DWORD
	v_fma_f16 v6, v21, v15, -v16
	s_waitcnt vmcnt(7)
	v_lshrrev_b32_e32 v15, 16, v8
	ds_write2st64_b32 v22, v2, v3 offset1:2
	v_fma_f16 v3, v21, v7, v5
	s_waitcnt vmcnt(5)
	v_lshrrev_b32_e32 v7, 16, v10
	v_mul_f16_sdwa v16, v17, v8 dst_sel:DWORD dst_unused:UNUSED_PAD src0_sel:WORD_1 src1_sel:DWORD
	v_pack_b32_f16 v2, v4, v14
	v_mul_f16_sdwa v4, v17, v15 dst_sel:DWORD dst_unused:UNUSED_PAD src0_sel:WORD_1 src1_sel:DWORD
	s_waitcnt vmcnt(4)
	v_mul_f16_sdwa v14, v13, v10 dst_sel:DWORD dst_unused:UNUSED_PAD src0_sel:WORD_1 src1_sel:DWORD
	v_pack_b32_f16 v3, v3, v6
	v_mul_f16_sdwa v6, v13, v7 dst_sel:DWORD dst_unused:UNUSED_PAD src0_sel:WORD_1 src1_sel:DWORD
	v_fma_f16 v5, v17, v15, -v16
	v_fma_f16 v4, v17, v8, v4
	v_fma_f16 v7, v13, v7, -v14
	s_waitcnt vmcnt(3)
	v_lshrrev_b32_e32 v8, 16, v11
	s_waitcnt vmcnt(2)
	v_mul_f16_sdwa v14, v9, v11 dst_sel:DWORD dst_unused:UNUSED_PAD src0_sel:WORD_1 src1_sel:DWORD
	ds_write2st64_b32 v22, v2, v3 offset0:4 offset1:6
	v_fma_f16 v3, v13, v10, v6
	s_waitcnt vmcnt(1)
	v_lshrrev_b32_e32 v6, 16, v12
	v_pack_b32_f16 v2, v4, v5
	v_mul_f16_sdwa v4, v9, v8 dst_sel:DWORD dst_unused:UNUSED_PAD src0_sel:WORD_1 src1_sel:DWORD
	v_fma_f16 v5, v9, v8, -v14
	s_waitcnt vmcnt(0)
	v_mul_f16_sdwa v8, v1, v12 dst_sel:DWORD dst_unused:UNUSED_PAD src0_sel:WORD_1 src1_sel:DWORD
	v_pack_b32_f16 v3, v3, v7
	v_mul_f16_sdwa v7, v1, v6 dst_sel:DWORD dst_unused:UNUSED_PAD src0_sel:WORD_1 src1_sel:DWORD
	v_fma_f16 v4, v9, v11, v4
	v_fma_f16 v6, v1, v6, -v8
	ds_write2st64_b32 v22, v2, v3 offset0:8 offset1:10
	v_fma_f16 v3, v1, v12, v7
	v_pack_b32_f16 v2, v4, v5
	v_pack_b32_f16 v3, v3, v6
	ds_write2st64_b32 v22, v2, v3 offset0:12 offset1:14
	s_waitcnt lgkmcnt(0)
	s_barrier
	ds_read2st64_b32 v[2:3], v22 offset1:2
	ds_read2st64_b32 v[4:5], v22 offset0:4 offset1:6
	ds_read2st64_b32 v[6:7], v22 offset0:8 offset1:10
	;; [unrolled: 1-line block ×3, first 2 shown]
	s_waitcnt lgkmcnt(0)
	s_barrier
	v_pk_add_f16 v6, v2, v6 neg_lo:[0,1] neg_hi:[0,1]
	v_pk_add_f16 v8, v4, v10 neg_lo:[0,1] neg_hi:[0,1]
	v_pk_fma_f16 v2, v2, 2.0, v6 op_sel_hi:[1,0,1] neg_lo:[0,0,1] neg_hi:[0,0,1]
	v_pk_fma_f16 v4, v4, 2.0, v8 op_sel_hi:[1,0,1] neg_lo:[0,0,1] neg_hi:[0,0,1]
	v_pk_add_f16 v7, v3, v7 neg_lo:[0,1] neg_hi:[0,1]
	v_pk_add_f16 v10, v5, v11 neg_lo:[0,1] neg_hi:[0,1]
	;; [unrolled: 1-line block ×3, first 2 shown]
	v_pk_fma_f16 v3, v3, 2.0, v7 op_sel_hi:[1,0,1] neg_lo:[0,0,1] neg_hi:[0,0,1]
	v_pk_fma_f16 v5, v5, 2.0, v10 op_sel_hi:[1,0,1] neg_lo:[0,0,1] neg_hi:[0,0,1]
	;; [unrolled: 1-line block ×3, first 2 shown]
	v_lshrrev_b32_e32 v2, 16, v6
	v_sub_f16_sdwa v12, v6, v8 dst_sel:DWORD dst_unused:UNUSED_PAD src0_sel:DWORD src1_sel:WORD_1
	v_add_f16_e32 v8, v2, v8
	v_pk_add_f16 v5, v3, v5 neg_lo:[0,1] neg_hi:[0,1]
	v_fma_f16 v14, v2, 2.0, -v8
	v_pk_fma_f16 v2, v3, 2.0, v5 op_sel_hi:[1,0,1] neg_lo:[0,0,1] neg_hi:[0,0,1]
	v_sub_f16_sdwa v3, v7, v10 dst_sel:DWORD dst_unused:UNUSED_PAD src0_sel:DWORD src1_sel:WORD_1
	v_lshrrev_b32_e32 v15, 16, v7
	v_fma_f16 v6, v6, 2.0, -v12
	v_add_f16_e32 v10, v15, v10
	v_fma_f16 v7, v7, 2.0, -v3
	v_fma_f16 v15, v15, 2.0, -v10
	v_fma_f16 v16, v7, s2, v6
	v_fma_f16 v18, v15, s2, v14
	;; [unrolled: 1-line block ×4, first 2 shown]
	v_fma_f16 v18, v6, 2.0, -v15
	v_sub_f16_sdwa v19, v11, v5 dst_sel:DWORD dst_unused:UNUSED_PAD src0_sel:DWORD src1_sel:WORD_1
	v_lshrrev_b32_e32 v6, 16, v11
	v_add_f16_e32 v20, v6, v5
	v_fma_f16 v5, v11, 2.0, -v19
	v_fma_f16 v7, v3, s3, v12
	v_fma_f16 v11, v10, s3, v8
	;; [unrolled: 1-line block ×4, first 2 shown]
	v_pk_add_f16 v2, v4, v2 neg_lo:[0,1] neg_hi:[0,1]
	v_fma_f16 v14, v14, 2.0, -v16
	v_fma_f16 v6, v6, 2.0, -v20
	;; [unrolled: 1-line block ×4, first 2 shown]
	v_pk_fma_f16 v4, v4, 2.0, v2 op_sel_hi:[1,0,1] neg_lo:[0,0,1] neg_hi:[0,0,1]
	v_pack_b32_f16 v7, v7, v8
	v_pack_b32_f16 v6, v5, v6
	;; [unrolled: 1-line block ×3, first 2 shown]
	v_and_b32_e32 v12, 7, v0
	ds_write_b128 v26, v[4:7]
	v_pack_b32_f16 v5, v10, v3
	v_pack_b32_f16 v4, v19, v20
	;; [unrolled: 1-line block ×3, first 2 shown]
	v_mad_u64_u32 v[10:11], s[12:13], v12, 28, s[10:11]
	ds_write_b128 v26, v[2:5] offset:16
	s_waitcnt lgkmcnt(0)
	s_barrier
	global_load_dwordx4 v[2:5], v[10:11], off
	global_load_dwordx3 v[6:8], v[10:11], off offset:16
	ds_read2st64_b32 v[10:11], v22 offset1:2
	ds_read2st64_b32 v[14:15], v22 offset0:4 offset1:6
	ds_read2st64_b32 v[18:19], v22 offset0:8 offset1:10
	;; [unrolled: 1-line block ×3, first 2 shown]
	v_lshlrev_b32_e32 v16, 3, v0
	s_movk_i32 s12, 0x3c0
	s_waitcnt lgkmcnt(2)
	v_lshrrev_b32_e32 v27, 16, v14
	v_lshrrev_b32_e32 v23, 16, v11
	s_waitcnt lgkmcnt(0)
	v_lshrrev_b32_e32 v35, 16, v30
	v_lshrrev_b32_e32 v36, 16, v31
	;; [unrolled: 1-line block ×6, first 2 shown]
	v_and_or_b32 v12, v16, s12, v12
	s_barrier
	v_and_b32_e32 v16, 63, v0
	s_waitcnt vmcnt(1)
	v_mul_f16_sdwa v37, v23, v2 dst_sel:DWORD dst_unused:UNUSED_PAD src0_sel:DWORD src1_sel:WORD_1
	s_waitcnt vmcnt(0)
	v_mul_f16_sdwa v47, v35, v7 dst_sel:DWORD dst_unused:UNUSED_PAD src0_sel:DWORD src1_sel:WORD_1
	v_mul_f16_sdwa v38, v11, v2 dst_sel:DWORD dst_unused:UNUSED_PAD src0_sel:DWORD src1_sel:WORD_1
	v_fma_f16 v11, v11, v2, -v37
	v_fma_f16 v37, v30, v7, -v47
	v_mul_f16_sdwa v30, v30, v7 dst_sel:DWORD dst_unused:UNUSED_PAD src0_sel:DWORD src1_sel:WORD_1
	v_fma_f16 v30, v35, v7, v30
	v_mul_f16_sdwa v35, v36, v8 dst_sel:DWORD dst_unused:UNUSED_PAD src0_sel:DWORD src1_sel:WORD_1
	v_mul_f16_sdwa v39, v27, v3 dst_sel:DWORD dst_unused:UNUSED_PAD src0_sel:DWORD src1_sel:WORD_1
	;; [unrolled: 1-line block ×9, first 2 shown]
	v_fma_f16 v35, v31, v8, -v35
	v_mul_f16_sdwa v31, v31, v8 dst_sel:DWORD dst_unused:UNUSED_PAD src0_sel:DWORD src1_sel:WORD_1
	v_fma_f16 v23, v23, v2, v38
	v_fma_f16 v14, v14, v3, -v39
	v_fma_f16 v27, v27, v3, v40
	v_fma_f16 v15, v15, v4, -v41
	;; [unrolled: 2-line block ×4, first 2 shown]
	v_fma_f16 v34, v34, v6, v46
	v_fma_f16 v31, v36, v8, v31
	v_sub_f16_e32 v18, v10, v18
	v_sub_f16_e32 v33, v20, v33
	;; [unrolled: 1-line block ×8, first 2 shown]
	v_fma_f16 v10, v10, 2.0, -v18
	v_fma_f16 v20, v20, 2.0, -v33
	;; [unrolled: 1-line block ×8, first 2 shown]
	v_sub_f16_e32 v30, v18, v30
	v_add_f16_e32 v36, v33, v36
	v_sub_f16_e32 v31, v19, v31
	v_add_f16_e32 v35, v34, v35
	v_sub_f16_e32 v14, v10, v14
	v_sub_f16_e32 v27, v20, v27
	v_fma_f16 v18, v18, 2.0, -v30
	v_fma_f16 v33, v33, 2.0, -v36
	v_sub_f16_e32 v15, v11, v15
	v_sub_f16_e32 v32, v23, v32
	v_fma_f16 v19, v19, 2.0, -v31
	v_fma_f16 v34, v34, 2.0, -v35
	;; [unrolled: 1-line block ×6, first 2 shown]
	v_fma_f16 v37, v19, s2, v18
	v_fma_f16 v38, v34, s2, v33
	v_add_f16_e32 v15, v27, v15
	v_sub_f16_e32 v11, v10, v11
	v_sub_f16_e32 v23, v20, v23
	v_fma_f16 v34, v34, s2, v37
	v_fma_f16 v19, v19, s3, v38
	v_fma_f16 v37, v27, 2.0, -v15
	v_fma_f16 v27, v31, s3, v30
	v_fma_f16 v38, v35, s3, v36
	v_fma_f16 v10, v10, 2.0, -v11
	v_fma_f16 v20, v20, 2.0, -v23
	;; [unrolled: 1-line block ×4, first 2 shown]
	v_sub_f16_e32 v32, v14, v32
	v_fma_f16 v35, v35, s2, v27
	v_fma_f16 v31, v31, s3, v38
	v_fma_f16 v14, v14, 2.0, -v32
	v_fma_f16 v30, v30, 2.0, -v35
	;; [unrolled: 1-line block ×3, first 2 shown]
	v_lshlrev_b32_e32 v27, 2, v12
	v_pack_b32_f16 v10, v10, v20
	v_pack_b32_f16 v12, v18, v33
	ds_write2_b32 v27, v10, v12 offset1:8
	v_pack_b32_f16 v10, v14, v37
	v_pack_b32_f16 v12, v30, v36
	ds_write2_b32 v27, v10, v12 offset0:16 offset1:24
	v_pack_b32_f16 v10, v11, v23
	v_pack_b32_f16 v11, v34, v19
	ds_write2_b32 v27, v10, v11 offset0:32 offset1:40
	;; [unrolled: 3-line block ×3, first 2 shown]
	v_mad_u64_u32 v[10:11], s[12:13], v16, 12, s[10:11]
	s_waitcnt lgkmcnt(0)
	s_barrier
	global_load_dwordx3 v[10:12], v[10:11], off offset:224
	ds_read2st64_b32 v[14:15], v22 offset1:2
	ds_read2st64_b32 v[18:19], v22 offset0:4 offset1:6
	ds_read2st64_b32 v[30:31], v22 offset0:8 offset1:10
	;; [unrolled: 1-line block ×3, first 2 shown]
	s_movk_i32 s12, 0x100
	s_waitcnt lgkmcnt(3)
	v_lshrrev_b32_e32 v20, 16, v14
	s_waitcnt lgkmcnt(2)
	v_lshrrev_b32_e32 v23, 16, v18
	s_waitcnt lgkmcnt(1)
	v_lshrrev_b32_e32 v34, 16, v30
	s_waitcnt lgkmcnt(0)
	v_lshrrev_b32_e32 v35, 16, v32
	v_lshrrev_b32_e32 v37, 16, v19
	v_lshrrev_b32_e32 v38, 16, v31
	;; [unrolled: 1-line block ×4, first 2 shown]
	s_barrier
	s_waitcnt vmcnt(0)
	v_mul_f16_sdwa v40, v23, v10 dst_sel:DWORD dst_unused:UNUSED_PAD src0_sel:DWORD src1_sel:WORD_1
	v_fma_f16 v40, v18, v10, -v40
	v_mul_f16_sdwa v18, v18, v10 dst_sel:DWORD dst_unused:UNUSED_PAD src0_sel:DWORD src1_sel:WORD_1
	v_fma_f16 v18, v23, v10, v18
	v_mul_f16_sdwa v23, v34, v11 dst_sel:DWORD dst_unused:UNUSED_PAD src0_sel:DWORD src1_sel:WORD_1
	v_fma_f16 v23, v30, v11, -v23
	v_mul_f16_sdwa v30, v30, v11 dst_sel:DWORD dst_unused:UNUSED_PAD src0_sel:DWORD src1_sel:WORD_1
	v_fma_f16 v30, v34, v11, v30
	;; [unrolled: 4-line block ×5, first 2 shown]
	v_mul_f16_sdwa v38, v39, v12 dst_sel:DWORD dst_unused:UNUSED_PAD src0_sel:DWORD src1_sel:WORD_1
	v_fma_f16 v38, v33, v12, -v38
	v_mul_f16_sdwa v33, v33, v12 dst_sel:DWORD dst_unused:UNUSED_PAD src0_sel:DWORD src1_sel:WORD_1
	v_sub_f16_e32 v30, v20, v30
	v_sub_f16_e32 v34, v40, v34
	v_fma_f16 v33, v39, v12, v33
	v_sub_f16_e32 v23, v14, v23
	v_sub_f16_e32 v32, v18, v32
	v_fma_f16 v39, v40, 2.0, -v34
	v_add_f16_e32 v34, v30, v34
	v_fma_f16 v14, v14, 2.0, -v23
	v_fma_f16 v20, v20, 2.0, -v30
	;; [unrolled: 1-line block ×4, first 2 shown]
	v_sub_f16_e32 v30, v15, v37
	v_sub_f16_e32 v33, v19, v33
	;; [unrolled: 1-line block ×5, first 2 shown]
	v_fma_f16 v19, v19, 2.0, -v33
	v_sub_f16_e32 v33, v30, v33
	v_fma_f16 v14, v14, 2.0, -v39
	v_fma_f16 v20, v20, 2.0, -v18
	v_fma_f16 v23, v23, 2.0, -v32
	v_fma_f16 v15, v15, 2.0, -v30
	v_sub_f16_e32 v37, v35, v38
	v_fma_f16 v38, v30, 2.0, -v33
	v_and_or_b32 v30, v22, s12, v16
	v_sub_f16_e32 v31, v36, v31
	v_lshlrev_b32_e32 v30, 2, v30
	v_pack_b32_f16 v14, v14, v20
	v_pack_b32_f16 v20, v23, v40
	v_fma_f16 v36, v36, 2.0, -v31
	v_fma_f16 v35, v35, 2.0, -v37
	ds_write2st64_b32 v30, v14, v20 offset1:1
	v_pack_b32_f16 v14, v39, v18
	v_pack_b32_f16 v18, v32, v34
	v_sub_f16_e32 v35, v15, v35
	v_sub_f16_e32 v19, v36, v19
	v_add_f16_e32 v37, v31, v37
	ds_write2st64_b32 v30, v14, v18 offset0:2 offset1:3
	v_or_b32_e32 v14, 0x200, v22
	s_movk_i32 s12, 0x300
	v_fma_f16 v15, v15, 2.0, -v35
	v_fma_f16 v36, v36, 2.0, -v19
	;; [unrolled: 1-line block ×3, first 2 shown]
	v_and_or_b32 v14, v14, s12, v16
	v_lshlrev_b32_e32 v31, 2, v14
	v_pack_b32_f16 v14, v15, v36
	v_pack_b32_f16 v15, v38, v41
	ds_write2st64_b32 v31, v14, v15 offset1:1
	v_pack_b32_f16 v14, v35, v19
	v_pack_b32_f16 v15, v33, v37
	v_mad_u64_u32 v[32:33], s[10:11], v0, 12, s[10:11]
	ds_write2st64_b32 v31, v14, v15 offset0:2 offset1:3
	s_waitcnt lgkmcnt(0)
	s_barrier
	global_load_dwordx3 v[14:16], v[32:33], off offset:992
	global_load_dwordx3 v[18:20], v[32:33], off offset:2528
	ds_read2st64_b32 v[32:33], v22 offset1:2
	ds_read2st64_b32 v[34:35], v22 offset0:4 offset1:6
	ds_read2st64_b32 v[36:37], v22 offset0:8 offset1:10
	;; [unrolled: 1-line block ×3, first 2 shown]
	v_mov_b32_e32 v23, 0
	v_lshl_add_u64 v[40:41], s[8:9], 0, v[22:23]
	s_waitcnt lgkmcnt(2)
	v_lshrrev_b32_e32 v42, 16, v34
	s_waitcnt lgkmcnt(1)
	v_lshrrev_b32_e32 v43, 16, v36
	;; [unrolled: 2-line block ×3, first 2 shown]
	v_lshrrev_b32_e32 v46, 16, v35
	v_lshrrev_b32_e32 v47, 16, v37
	v_lshrrev_b32_e32 v48, 16, v39
	v_lshrrev_b32_e32 v23, 16, v32
	v_lshrrev_b32_e32 v45, 16, v33
	s_movk_i32 s8, 0x1000
	s_waitcnt vmcnt(1)
	v_mul_f16_sdwa v49, v42, v14 dst_sel:DWORD dst_unused:UNUSED_PAD src0_sel:DWORD src1_sel:WORD_1
	v_fma_f16 v49, v34, v14, -v49
	v_mul_f16_sdwa v34, v34, v14 dst_sel:DWORD dst_unused:UNUSED_PAD src0_sel:DWORD src1_sel:WORD_1
	v_fma_f16 v34, v42, v14, v34
	v_mul_f16_sdwa v42, v43, v15 dst_sel:DWORD dst_unused:UNUSED_PAD src0_sel:DWORD src1_sel:WORD_1
	v_fma_f16 v42, v36, v15, -v42
	v_mul_f16_sdwa v36, v36, v15 dst_sel:DWORD dst_unused:UNUSED_PAD src0_sel:DWORD src1_sel:WORD_1
	v_fma_f16 v36, v43, v15, v36
	;; [unrolled: 4-line block ×3, first 2 shown]
	s_waitcnt vmcnt(0)
	v_mul_f16_sdwa v44, v46, v18 dst_sel:DWORD dst_unused:UNUSED_PAD src0_sel:DWORD src1_sel:WORD_1
	v_fma_f16 v44, v35, v18, -v44
	v_mul_f16_sdwa v35, v35, v18 dst_sel:DWORD dst_unused:UNUSED_PAD src0_sel:DWORD src1_sel:WORD_1
	v_fma_f16 v35, v46, v18, v35
	v_mul_f16_sdwa v46, v47, v19 dst_sel:DWORD dst_unused:UNUSED_PAD src0_sel:DWORD src1_sel:WORD_1
	v_fma_f16 v46, v37, v19, -v46
	v_mul_f16_sdwa v37, v37, v19 dst_sel:DWORD dst_unused:UNUSED_PAD src0_sel:DWORD src1_sel:WORD_1
	v_fma_f16 v37, v47, v19, v37
	;; [unrolled: 4-line block ×3, first 2 shown]
	v_sub_f16_e32 v42, v32, v42
	v_sub_f16_e32 v36, v23, v36
	;; [unrolled: 1-line block ×8, first 2 shown]
	v_fma_f16 v32, v32, 2.0, -v42
	v_fma_f16 v23, v23, 2.0, -v36
	;; [unrolled: 1-line block ×8, first 2 shown]
	v_sub_f16_e32 v48, v32, v48
	v_sub_f16_e32 v34, v23, v34
	;; [unrolled: 1-line block ×4, first 2 shown]
	v_fma_f16 v32, v32, 2.0, -v48
	v_fma_f16 v23, v23, 2.0, -v34
	v_sub_f16_e32 v38, v42, v38
	v_add_f16_e32 v43, v36, v43
	v_fma_f16 v33, v33, 2.0, -v44
	v_fma_f16 v45, v45, 2.0, -v35
	v_sub_f16_e32 v39, v46, v39
	v_add_f16_e32 v47, v37, v47
	v_fma_f16 v42, v42, 2.0, -v38
	v_fma_f16 v36, v36, 2.0, -v43
	;; [unrolled: 1-line block ×4, first 2 shown]
	v_pack_b32_f16 v23, v32, v23
	v_pack_b32_f16 v33, v33, v45
	v_pack_b32_f16 v32, v42, v36
	ds_write2st64_b32 v22, v23, v33 offset1:2
	v_pack_b32_f16 v23, v46, v37
	v_pack_b32_f16 v34, v48, v34
	ds_write2st64_b32 v22, v32, v23 offset0:4 offset1:6
	v_pack_b32_f16 v23, v44, v35
	v_add_co_u32_e32 v32, vcc, s8, v40
	v_pack_b32_f16 v36, v38, v43
	ds_write2st64_b32 v22, v34, v23 offset0:8 offset1:10
	v_pack_b32_f16 v23, v39, v47
	v_addc_co_u32_e32 v33, vcc, 0, v41, vcc
	ds_write2st64_b32 v22, v36, v23 offset0:12 offset1:14
	s_waitcnt lgkmcnt(0)
	s_barrier
	global_load_dword v23, v[32:33], off
	s_mov_b64 s[8:9], 0x1000
	v_lshl_add_u64 v[32:33], v[40:41], 0, s[8:9]
	global_load_dword v36, v[32:33], off offset:512
	global_load_dword v37, v[32:33], off offset:1024
	global_load_dword v38, v[32:33], off offset:1536
	global_load_dword v39, v[32:33], off offset:2048
	global_load_dword v40, v[32:33], off offset:2560
	global_load_dword v41, v[32:33], off offset:3072
	global_load_dword v42, v[32:33], off offset:3584
	ds_read2st64_b32 v[32:33], v22 offset1:2
	s_waitcnt lgkmcnt(0)
	v_lshrrev_b32_e32 v34, 16, v32
	s_waitcnt vmcnt(7)
	v_mul_f16_sdwa v35, v34, v23 dst_sel:DWORD dst_unused:UNUSED_PAD src0_sel:DWORD src1_sel:WORD_1
	v_fma_f16 v35, v32, v23, -v35
	v_mul_f16_sdwa v32, v32, v23 dst_sel:DWORD dst_unused:UNUSED_PAD src0_sel:DWORD src1_sel:WORD_1
	v_fma_f16 v23, v34, v23, v32
	v_lshrrev_b32_e32 v32, 16, v33
	s_waitcnt vmcnt(6)
	v_mul_f16_sdwa v34, v32, v36 dst_sel:DWORD dst_unused:UNUSED_PAD src0_sel:DWORD src1_sel:WORD_1
	v_pack_b32_f16 v23, v35, v23
	v_fma_f16 v43, v33, v36, -v34
	ds_read2st64_b32 v[34:35], v22 offset0:4 offset1:6
	v_mul_f16_sdwa v33, v33, v36 dst_sel:DWORD dst_unused:UNUSED_PAD src0_sel:DWORD src1_sel:WORD_1
	v_fma_f16 v32, v32, v36, v33
	v_pack_b32_f16 v32, v43, v32
	ds_write2st64_b32 v22, v23, v32 offset1:2
	s_waitcnt lgkmcnt(1)
	v_lshrrev_b32_e32 v23, 16, v34
	s_waitcnt vmcnt(5)
	v_mul_f16_sdwa v32, v23, v37 dst_sel:DWORD dst_unused:UNUSED_PAD src0_sel:DWORD src1_sel:WORD_1
	v_mul_f16_sdwa v33, v34, v37 dst_sel:DWORD dst_unused:UNUSED_PAD src0_sel:DWORD src1_sel:WORD_1
	v_fma_f16 v32, v34, v37, -v32
	v_fma_f16 v23, v23, v37, v33
	v_lshrrev_b32_e32 v34, 16, v35
	v_pack_b32_f16 v23, v32, v23
	s_waitcnt vmcnt(4)
	v_mul_f16_sdwa v32, v34, v38 dst_sel:DWORD dst_unused:UNUSED_PAD src0_sel:DWORD src1_sel:WORD_1
	v_fma_f16 v36, v35, v38, -v32
	ds_read2st64_b32 v[32:33], v22 offset0:8 offset1:10
	v_mul_f16_sdwa v35, v35, v38 dst_sel:DWORD dst_unused:UNUSED_PAD src0_sel:DWORD src1_sel:WORD_1
	v_fma_f16 v34, v34, v38, v35
	v_pack_b32_f16 v34, v36, v34
	ds_write2st64_b32 v22, v23, v34 offset0:4 offset1:6
	s_waitcnt lgkmcnt(1)
	v_lshrrev_b32_e32 v23, 16, v32
	s_waitcnt vmcnt(3)
	v_mul_f16_sdwa v34, v23, v39 dst_sel:DWORD dst_unused:UNUSED_PAD src0_sel:DWORD src1_sel:WORD_1
	v_fma_f16 v34, v32, v39, -v34
	v_mul_f16_sdwa v32, v32, v39 dst_sel:DWORD dst_unused:UNUSED_PAD src0_sel:DWORD src1_sel:WORD_1
	v_fma_f16 v23, v23, v39, v32
	v_lshrrev_b32_e32 v32, 16, v33
	v_pack_b32_f16 v23, v34, v23
	s_waitcnt vmcnt(2)
	v_mul_f16_sdwa v34, v32, v40 dst_sel:DWORD dst_unused:UNUSED_PAD src0_sel:DWORD src1_sel:WORD_1
	v_fma_f16 v36, v33, v40, -v34
	ds_read2st64_b32 v[34:35], v22 offset0:12 offset1:14
	v_mul_f16_sdwa v33, v33, v40 dst_sel:DWORD dst_unused:UNUSED_PAD src0_sel:DWORD src1_sel:WORD_1
	v_fma_f16 v32, v32, v40, v33
	v_pack_b32_f16 v32, v36, v32
	ds_write2st64_b32 v22, v23, v32 offset0:8 offset1:10
	s_waitcnt lgkmcnt(1)
	v_lshrrev_b32_e32 v23, 16, v34
	s_waitcnt vmcnt(1)
	v_mul_f16_sdwa v32, v23, v41 dst_sel:DWORD dst_unused:UNUSED_PAD src0_sel:DWORD src1_sel:WORD_1
	v_mul_f16_sdwa v33, v34, v41 dst_sel:DWORD dst_unused:UNUSED_PAD src0_sel:DWORD src1_sel:WORD_1
	v_fma_f16 v32, v34, v41, -v32
	v_fma_f16 v23, v23, v41, v33
	v_pack_b32_f16 v23, v32, v23
	v_lshrrev_b32_e32 v32, 16, v35
	s_waitcnt vmcnt(0)
	v_mul_f16_sdwa v33, v32, v42 dst_sel:DWORD dst_unused:UNUSED_PAD src0_sel:DWORD src1_sel:WORD_1
	v_mul_f16_sdwa v34, v35, v42 dst_sel:DWORD dst_unused:UNUSED_PAD src0_sel:DWORD src1_sel:WORD_1
	v_fma_f16 v33, v35, v42, -v33
	v_fma_f16 v32, v32, v42, v34
	v_pack_b32_f16 v32, v33, v32
	ds_write2st64_b32 v22, v23, v32 offset0:12 offset1:14
	s_waitcnt lgkmcnt(0)
	s_barrier
	ds_read2st64_b32 v[32:33], v22 offset1:2
	ds_read2st64_b32 v[34:35], v22 offset0:8 offset1:10
	ds_read2st64_b32 v[36:37], v22 offset0:4 offset1:6
	;; [unrolled: 1-line block ×3, first 2 shown]
	s_waitcnt lgkmcnt(0)
	s_barrier
	v_pk_add_f16 v23, v32, v34 neg_lo:[0,1] neg_hi:[0,1]
	v_pk_add_f16 v35, v33, v35 neg_lo:[0,1] neg_hi:[0,1]
	v_pk_add_f16 v34, v36, v38 neg_lo:[0,1] neg_hi:[0,1]
	v_pk_fma_f16 v32, v32, 2.0, v23 op_sel_hi:[1,0,1] neg_lo:[0,0,1] neg_hi:[0,0,1]
	v_pk_fma_f16 v36, v36, 2.0, v34 op_sel_hi:[1,0,1] neg_lo:[0,0,1] neg_hi:[0,0,1]
	v_pk_add_f16 v38, v37, v39 neg_lo:[0,1] neg_hi:[0,1]
	v_pk_add_f16 v36, v32, v36 neg_lo:[0,1] neg_hi:[0,1]
	v_pk_fma_f16 v33, v33, 2.0, v35 op_sel_hi:[1,0,1] neg_lo:[0,0,1] neg_hi:[0,0,1]
	v_pk_fma_f16 v37, v37, 2.0, v38 op_sel_hi:[1,0,1] neg_lo:[0,0,1] neg_hi:[0,0,1]
	v_pk_fma_f16 v39, v32, 2.0, v36 op_sel_hi:[1,0,1] neg_lo:[0,0,1] neg_hi:[0,0,1]
	v_lshrrev_b32_e32 v32, 16, v23
	v_add_f16_sdwa v40, v23, v34 dst_sel:DWORD dst_unused:UNUSED_PAD src0_sel:DWORD src1_sel:WORD_1
	v_sub_f16_e32 v41, v32, v34
	v_pk_add_f16 v37, v33, v37 neg_lo:[0,1] neg_hi:[0,1]
	v_lshrrev_b32_e32 v34, 16, v35
	v_fma_f16 v42, v32, 2.0, -v41
	v_pk_fma_f16 v32, v33, 2.0, v37 op_sel_hi:[1,0,1] neg_lo:[0,0,1] neg_hi:[0,0,1]
	v_add_f16_sdwa v33, v35, v38 dst_sel:DWORD dst_unused:UNUSED_PAD src0_sel:DWORD src1_sel:WORD_1
	v_sub_f16_e32 v38, v34, v38
	v_fma_f16 v23, v23, 2.0, -v40
	v_fma_f16 v35, v35, 2.0, -v33
	;; [unrolled: 1-line block ×3, first 2 shown]
	v_pk_add_f16 v32, v39, v32 neg_lo:[0,1] neg_hi:[0,1]
	v_fma_f16 v44, v43, s2, v42
	v_pk_fma_f16 v34, v39, 2.0, v32 op_sel_hi:[1,0,1] neg_lo:[0,0,1] neg_hi:[0,0,1]
	v_fma_f16 v39, v35, s2, v23
	v_fma_f16 v39, v43, s3, v39
	;; [unrolled: 1-line block ×3, first 2 shown]
	v_lshrrev_b32_e32 v44, 16, v36
	v_fma_f16 v35, v42, 2.0, -v43
	v_add_f16_sdwa v42, v36, v37 dst_sel:DWORD dst_unused:UNUSED_PAD src0_sel:DWORD src1_sel:WORD_1
	v_sub_f16_e32 v45, v44, v37
	v_fma_f16 v37, v33, s3, v40
	v_fma_f16 v46, v38, s3, v41
	v_fma_f16 v38, v38, s3, v37
	v_fma_f16 v33, v33, s2, v46
	v_fma_f16 v23, v23, 2.0, -v39
	v_fma_f16 v36, v36, 2.0, -v42
	;; [unrolled: 1-line block ×5, first 2 shown]
	v_pack_b32_f16 v37, v37, v40
	v_pack_b32_f16 v36, v36, v44
	;; [unrolled: 1-line block ×3, first 2 shown]
	ds_write_b128 v26, v[34:37]
	v_pack_b32_f16 v35, v38, v33
	v_pack_b32_f16 v34, v42, v45
	v_pack_b32_f16 v33, v39, v43
	ds_write_b128 v26, v[32:35] offset:16
	s_waitcnt lgkmcnt(0)
	s_barrier
	ds_read2st64_b32 v[32:33], v22 offset1:2
	ds_read2st64_b32 v[34:35], v22 offset0:4 offset1:6
	ds_read2st64_b32 v[36:37], v22 offset0:8 offset1:10
	;; [unrolled: 1-line block ×3, first 2 shown]
	s_waitcnt lgkmcnt(0)
	v_lshrrev_b32_e32 v40, 16, v33
	v_mul_f16_sdwa v47, v2, v40 dst_sel:DWORD dst_unused:UNUSED_PAD src0_sel:WORD_1 src1_sel:DWORD
	v_lshrrev_b32_e32 v41, 16, v34
	v_fma_f16 v47, v2, v33, v47
	v_mul_f16_sdwa v33, v2, v33 dst_sel:DWORD dst_unused:UNUSED_PAD src0_sel:WORD_1 src1_sel:DWORD
	v_fma_f16 v2, v2, v40, -v33
	v_mul_f16_sdwa v33, v3, v41 dst_sel:DWORD dst_unused:UNUSED_PAD src0_sel:WORD_1 src1_sel:DWORD
	v_lshrrev_b32_e32 v42, 16, v35
	v_fma_f16 v33, v3, v34, v33
	v_mul_f16_sdwa v34, v3, v34 dst_sel:DWORD dst_unused:UNUSED_PAD src0_sel:WORD_1 src1_sel:DWORD
	v_fma_f16 v3, v3, v41, -v34
	;; [unrolled: 5-line block ×6, first 2 shown]
	v_mul_f16_sdwa v38, v8, v46 dst_sel:DWORD dst_unused:UNUSED_PAD src0_sel:WORD_1 src1_sel:DWORD
	v_fma_f16 v38, v8, v39, v38
	v_mul_f16_sdwa v39, v8, v39 dst_sel:DWORD dst_unused:UNUSED_PAD src0_sel:WORD_1 src1_sel:DWORD
	v_lshrrev_b32_e32 v23, 16, v32
	v_fma_f16 v8, v8, v46, -v39
	v_sub_f16_e32 v35, v32, v35
	v_sub_f16_e32 v5, v23, v5
	;; [unrolled: 1-line block ×8, first 2 shown]
	v_fma_f16 v32, v32, 2.0, -v35
	v_fma_f16 v23, v23, 2.0, -v5
	;; [unrolled: 1-line block ×8, first 2 shown]
	v_add_f16_e32 v7, v35, v7
	v_sub_f16_e32 v37, v5, v37
	v_add_f16_e32 v8, v36, v8
	v_sub_f16_e32 v38, v6, v38
	v_sub_f16_e32 v33, v32, v33
	;; [unrolled: 1-line block ×3, first 2 shown]
	v_fma_f16 v35, v35, 2.0, -v7
	v_fma_f16 v5, v5, 2.0, -v37
	v_sub_f16_e32 v34, v39, v34
	v_sub_f16_e32 v4, v2, v4
	v_fma_f16 v36, v36, 2.0, -v8
	v_fma_f16 v6, v6, 2.0, -v38
	;; [unrolled: 1-line block ×6, first 2 shown]
	v_fma_f16 v40, v36, s2, v35
	v_fma_f16 v41, v6, s2, v5
	v_sub_f16_e32 v39, v32, v39
	v_sub_f16_e32 v2, v23, v2
	v_fma_f16 v6, v6, s3, v40
	v_fma_f16 v36, v36, s2, v41
	;; [unrolled: 1-line block ×4, first 2 shown]
	v_fma_f16 v32, v32, 2.0, -v39
	v_fma_f16 v23, v23, 2.0, -v2
	;; [unrolled: 1-line block ×4, first 2 shown]
	v_add_f16_e32 v4, v33, v4
	v_sub_f16_e32 v34, v3, v34
	v_fma_f16 v38, v38, s3, v40
	v_fma_f16 v8, v8, s2, v41
	v_fma_f16 v33, v33, 2.0, -v4
	v_fma_f16 v3, v3, 2.0, -v34
	;; [unrolled: 1-line block ×4, first 2 shown]
	v_pack_b32_f16 v23, v32, v23
	v_pack_b32_f16 v5, v35, v5
	s_barrier
	ds_write2_b32 v27, v23, v5 offset1:8
	v_pack_b32_f16 v3, v33, v3
	v_pack_b32_f16 v5, v7, v37
	ds_write2_b32 v27, v3, v5 offset0:16 offset1:24
	v_pack_b32_f16 v2, v39, v2
	v_pack_b32_f16 v3, v6, v36
	ds_write2_b32 v27, v2, v3 offset0:32 offset1:40
	;; [unrolled: 3-line block ×3, first 2 shown]
	s_waitcnt lgkmcnt(0)
	s_barrier
	ds_read2st64_b32 v[2:3], v22 offset1:2
	ds_read2st64_b32 v[4:5], v22 offset0:4 offset1:6
	ds_read2st64_b32 v[6:7], v22 offset0:8 offset1:10
	;; [unrolled: 1-line block ×3, first 2 shown]
	s_waitcnt lgkmcnt(0)
	v_lshrrev_b32_e32 v8, 16, v2
	v_lshrrev_b32_e32 v23, 16, v4
	v_mul_f16_sdwa v40, v10, v23 dst_sel:DWORD dst_unused:UNUSED_PAD src0_sel:WORD_1 src1_sel:DWORD
	v_lshrrev_b32_e32 v34, 16, v6
	v_fma_f16 v40, v10, v4, v40
	v_mul_f16_sdwa v4, v10, v4 dst_sel:DWORD dst_unused:UNUSED_PAD src0_sel:WORD_1 src1_sel:DWORD
	v_fma_f16 v4, v10, v23, -v4
	v_mul_f16_sdwa v23, v11, v34 dst_sel:DWORD dst_unused:UNUSED_PAD src0_sel:WORD_1 src1_sel:DWORD
	v_lshrrev_b32_e32 v35, 16, v32
	v_fma_f16 v23, v11, v6, v23
	v_mul_f16_sdwa v6, v11, v6 dst_sel:DWORD dst_unused:UNUSED_PAD src0_sel:WORD_1 src1_sel:DWORD
	v_fma_f16 v6, v11, v34, -v6
	;; [unrolled: 5-line block ×5, first 2 shown]
	v_mul_f16_sdwa v11, v12, v39 dst_sel:DWORD dst_unused:UNUSED_PAD src0_sel:WORD_1 src1_sel:DWORD
	v_fma_f16 v11, v12, v33, v11
	v_mul_f16_sdwa v33, v12, v33 dst_sel:DWORD dst_unused:UNUSED_PAD src0_sel:WORD_1 src1_sel:DWORD
	v_fma_f16 v12, v12, v39, -v33
	v_sub_f16_e32 v23, v2, v23
	v_sub_f16_e32 v6, v8, v6
	;; [unrolled: 1-line block ×4, first 2 shown]
	v_lshrrev_b32_e32 v36, 16, v3
	v_fma_f16 v2, v2, 2.0, -v23
	v_fma_f16 v8, v8, 2.0, -v6
	;; [unrolled: 1-line block ×4, first 2 shown]
	v_sub_f16_e32 v34, v2, v34
	v_sub_f16_e32 v4, v8, v4
	v_add_f16_e32 v32, v23, v32
	v_sub_f16_e32 v33, v6, v33
	v_sub_f16_e32 v10, v3, v10
	;; [unrolled: 1-line block ×5, first 2 shown]
	v_fma_f16 v2, v2, 2.0, -v34
	v_fma_f16 v8, v8, 2.0, -v4
	;; [unrolled: 1-line block ×8, first 2 shown]
	v_sub_f16_e32 v35, v3, v35
	v_sub_f16_e32 v5, v36, v5
	v_add_f16_e32 v12, v10, v12
	v_sub_f16_e32 v11, v7, v11
	v_pack_b32_f16 v2, v2, v8
	v_pack_b32_f16 v6, v23, v6
	v_fma_f16 v3, v3, 2.0, -v35
	v_fma_f16 v36, v36, 2.0, -v5
	;; [unrolled: 1-line block ×4, first 2 shown]
	s_barrier
	ds_write2st64_b32 v30, v2, v6 offset1:1
	v_pack_b32_f16 v2, v34, v4
	v_pack_b32_f16 v4, v32, v33
	ds_write2st64_b32 v30, v2, v4 offset0:2 offset1:3
	v_pack_b32_f16 v2, v3, v36
	v_pack_b32_f16 v3, v10, v7
	ds_write2st64_b32 v31, v2, v3 offset1:1
	v_pack_b32_f16 v2, v35, v5
	v_pack_b32_f16 v3, v12, v11
	ds_write2st64_b32 v31, v2, v3 offset0:2 offset1:3
	s_waitcnt lgkmcnt(0)
	s_barrier
	ds_read2st64_b32 v[2:3], v22 offset1:2
	ds_read2st64_b32 v[4:5], v22 offset0:4 offset1:6
	ds_read2st64_b32 v[6:7], v22 offset0:8 offset1:10
	;; [unrolled: 1-line block ×3, first 2 shown]
	v_mov_b32_e32 v26, s0
	s_waitcnt lgkmcnt(3)
	v_lshrrev_b32_e32 v8, 16, v2
	s_waitcnt lgkmcnt(2)
	v_lshrrev_b32_e32 v12, 16, v4
	v_mul_f16_sdwa v37, v14, v12 dst_sel:DWORD dst_unused:UNUSED_PAD src0_sel:WORD_1 src1_sel:DWORD
	s_waitcnt lgkmcnt(1)
	v_lshrrev_b32_e32 v23, 16, v6
	v_fma_f16 v37, v14, v4, v37
	v_mul_f16_sdwa v4, v14, v4 dst_sel:DWORD dst_unused:UNUSED_PAD src0_sel:WORD_1 src1_sel:DWORD
	v_fma_f16 v4, v14, v12, -v4
	v_mul_f16_sdwa v12, v15, v23 dst_sel:DWORD dst_unused:UNUSED_PAD src0_sel:WORD_1 src1_sel:DWORD
	s_waitcnt lgkmcnt(0)
	v_lshrrev_b32_e32 v32, 16, v10
	v_lshrrev_b32_e32 v34, 16, v5
	v_fma_f16 v12, v15, v6, v12
	v_mul_f16_sdwa v6, v15, v6 dst_sel:DWORD dst_unused:UNUSED_PAD src0_sel:WORD_1 src1_sel:DWORD
	v_fma_f16 v6, v15, v23, -v6
	v_mul_f16_sdwa v14, v16, v32 dst_sel:DWORD dst_unused:UNUSED_PAD src0_sel:WORD_1 src1_sel:DWORD
	v_mul_f16_sdwa v15, v18, v34 dst_sel:DWORD dst_unused:UNUSED_PAD src0_sel:WORD_1 src1_sel:DWORD
	v_lshrrev_b32_e32 v35, 16, v7
	v_lshrrev_b32_e32 v36, 16, v11
	v_fma_f16 v14, v16, v10, v14
	v_mul_f16_sdwa v10, v16, v10 dst_sel:DWORD dst_unused:UNUSED_PAD src0_sel:WORD_1 src1_sel:DWORD
	v_fma_f16 v15, v18, v5, v15
	v_mul_f16_sdwa v5, v18, v5 dst_sel:DWORD dst_unused:UNUSED_PAD src0_sel:WORD_1 src1_sel:DWORD
	v_fma_f16 v10, v16, v32, -v10
	v_fma_f16 v5, v18, v34, -v5
	v_mul_f16_sdwa v16, v19, v35 dst_sel:DWORD dst_unused:UNUSED_PAD src0_sel:WORD_1 src1_sel:DWORD
	v_mul_f16_sdwa v18, v20, v36 dst_sel:DWORD dst_unused:UNUSED_PAD src0_sel:WORD_1 src1_sel:DWORD
	v_fma_f16 v16, v19, v7, v16
	v_mul_f16_sdwa v7, v19, v7 dst_sel:DWORD dst_unused:UNUSED_PAD src0_sel:WORD_1 src1_sel:DWORD
	v_fma_f16 v18, v20, v11, v18
	v_mul_f16_sdwa v11, v20, v11 dst_sel:DWORD dst_unused:UNUSED_PAD src0_sel:WORD_1 src1_sel:DWORD
	v_lshrrev_b32_e32 v33, 16, v3
	v_fma_f16 v7, v19, v35, -v7
	v_fma_f16 v11, v20, v36, -v11
	v_sub_f16_e32 v12, v2, v12
	v_sub_f16_e32 v6, v8, v6
	;; [unrolled: 1-line block ×8, first 2 shown]
	v_fma_f16 v2, v2, 2.0, -v12
	v_fma_f16 v8, v8, 2.0, -v6
	;; [unrolled: 1-line block ×8, first 2 shown]
	v_sub_f16_e32 v19, v2, v19
	v_sub_f16_e32 v4, v8, v4
	;; [unrolled: 1-line block ×4, first 2 shown]
	v_fma_f16 v2, v2, 2.0, -v19
	v_fma_f16 v8, v8, 2.0, -v4
	v_add_f16_e32 v10, v12, v10
	v_sub_f16_e32 v14, v6, v14
	v_fma_f16 v3, v3, 2.0, -v15
	v_fma_f16 v20, v20, 2.0, -v5
	v_add_f16_e32 v11, v16, v11
	v_sub_f16_e32 v18, v7, v18
	v_fma_f16 v12, v12, 2.0, -v10
	v_fma_f16 v6, v6, 2.0, -v14
	;; [unrolled: 1-line block ×4, first 2 shown]
	v_pack_b32_f16 v2, v2, v8
	v_pack_b32_f16 v3, v3, v20
	v_pack_b32_f16 v6, v12, v6
	ds_write2st64_b32 v22, v2, v3 offset1:2
	v_pack_b32_f16 v2, v16, v7
	v_pack_b32_f16 v4, v19, v4
	ds_write2st64_b32 v22, v6, v2 offset0:4 offset1:6
	v_pack_b32_f16 v2, v15, v5
	v_pack_b32_f16 v8, v10, v14
	ds_write2st64_b32 v22, v4, v2 offset0:8 offset1:10
	v_pack_b32_f16 v2, v11, v18
	ds_write2st64_b32 v22, v8, v2 offset0:12 offset1:14
	s_waitcnt lgkmcnt(0)
	s_barrier
	ds_read2st64_b32 v[2:3], v22 offset1:2
	v_mov_b32_e32 v27, s1
	v_mad_u64_u32 v[30:31], s[0:1], s6, v24, 0
	v_mov_b32_e32 v4, v31
	v_mad_u64_u32 v[4:5], s[0:1], s7, v24, v[4:5]
	v_mov_b32_e32 v31, v4
	s_waitcnt lgkmcnt(0)
	v_lshrrev_b32_e32 v4, 16, v2
	v_mul_f16_sdwa v5, v29, v4 dst_sel:DWORD dst_unused:UNUSED_PAD src0_sel:WORD_1 src1_sel:DWORD
	v_fma_f16 v5, v29, v2, v5
	v_mul_f16_sdwa v2, v29, v2 dst_sel:DWORD dst_unused:UNUSED_PAD src0_sel:WORD_1 src1_sel:DWORD
	s_movk_i32 s2, 0x1400
	v_mul_f16_e32 v8, 0x1400, v5
	v_fma_f16 v2, v29, v4, -v2
	v_mad_u64_u32 v[4:5], s[0:1], s4, v0, 0
	v_mul_f16_sdwa v10, v2, s2 dst_sel:WORD_1 dst_unused:UNUSED_PAD src0_sel:DWORD src1_sel:DWORD
	v_mov_b32_e32 v2, v5
	v_mad_u64_u32 v[6:7], s[0:1], s5, v0, v[2:3]
	v_mov_b32_e32 v5, v6
	v_lshl_add_u64 v[6:7], v[30:31], 2, v[26:27]
	v_or_b32_e32 v0, v10, v8
	v_lshl_add_u64 v[4:5], v[4:5], 2, v[6:7]
	global_store_dword v[4:5], v0, off
	v_lshrrev_b32_e32 v0, 16, v3
	v_mul_f16_sdwa v2, v28, v0 dst_sel:DWORD dst_unused:UNUSED_PAD src0_sel:WORD_1 src1_sel:DWORD
	v_fma_f16 v2, v28, v3, v2
	v_mul_f16_e32 v6, 0x1400, v2
	v_mul_f16_sdwa v2, v28, v3 dst_sel:DWORD dst_unused:UNUSED_PAD src0_sel:WORD_1 src1_sel:DWORD
	v_fma_f16 v0, v28, v0, -v2
	ds_read2st64_b32 v[2:3], v22 offset0:4 offset1:6
	v_mul_f16_sdwa v0, v0, s2 dst_sel:WORD_1 dst_unused:UNUSED_PAD src0_sel:DWORD src1_sel:DWORD
	s_lshl_b64 s[0:1], s[4:5], 9
	v_or_b32_e32 v0, v0, v6
	v_lshl_add_u64 v[4:5], v[4:5], 0, s[0:1]
	global_store_dword v[4:5], v0, off
	s_waitcnt lgkmcnt(0)
	v_lshrrev_b32_e32 v0, 16, v2
	v_mul_f16_sdwa v6, v25, v0 dst_sel:DWORD dst_unused:UNUSED_PAD src0_sel:WORD_1 src1_sel:DWORD
	v_fma_f16 v6, v25, v2, v6
	v_mul_f16_sdwa v2, v25, v2 dst_sel:DWORD dst_unused:UNUSED_PAD src0_sel:WORD_1 src1_sel:DWORD
	v_fma_f16 v0, v25, v0, -v2
	v_mul_f16_e32 v6, 0x1400, v6
	v_mul_f16_sdwa v0, v0, s2 dst_sel:WORD_1 dst_unused:UNUSED_PAD src0_sel:DWORD src1_sel:DWORD
	v_lshl_add_u64 v[4:5], v[4:5], 0, s[0:1]
	v_or_b32_e32 v0, v0, v6
	global_store_dword v[4:5], v0, off
	v_lshrrev_b32_e32 v0, 16, v3
	v_mul_f16_sdwa v2, v21, v0 dst_sel:DWORD dst_unused:UNUSED_PAD src0_sel:WORD_1 src1_sel:DWORD
	v_fma_f16 v2, v21, v3, v2
	v_mul_f16_e32 v6, 0x1400, v2
	v_mul_f16_sdwa v2, v21, v3 dst_sel:DWORD dst_unused:UNUSED_PAD src0_sel:WORD_1 src1_sel:DWORD
	v_fma_f16 v0, v21, v0, -v2
	ds_read2st64_b32 v[2:3], v22 offset0:8 offset1:10
	v_mul_f16_sdwa v0, v0, s2 dst_sel:WORD_1 dst_unused:UNUSED_PAD src0_sel:DWORD src1_sel:DWORD
	v_lshl_add_u64 v[4:5], v[4:5], 0, s[0:1]
	v_or_b32_e32 v0, v0, v6
	global_store_dword v[4:5], v0, off
	s_waitcnt lgkmcnt(0)
	v_lshrrev_b32_e32 v0, 16, v2
	v_mul_f16_sdwa v6, v17, v0 dst_sel:DWORD dst_unused:UNUSED_PAD src0_sel:WORD_1 src1_sel:DWORD
	v_fma_f16 v6, v17, v2, v6
	v_mul_f16_sdwa v2, v17, v2 dst_sel:DWORD dst_unused:UNUSED_PAD src0_sel:WORD_1 src1_sel:DWORD
	v_fma_f16 v0, v17, v0, -v2
	v_mul_f16_e32 v6, 0x1400, v6
	v_mul_f16_sdwa v0, v0, s2 dst_sel:WORD_1 dst_unused:UNUSED_PAD src0_sel:DWORD src1_sel:DWORD
	v_lshl_add_u64 v[4:5], v[4:5], 0, s[0:1]
	v_or_b32_e32 v0, v0, v6
	global_store_dword v[4:5], v0, off
	v_lshrrev_b32_e32 v0, 16, v3
	v_mul_f16_sdwa v2, v13, v0 dst_sel:DWORD dst_unused:UNUSED_PAD src0_sel:WORD_1 src1_sel:DWORD
	v_fma_f16 v2, v13, v3, v2
	v_mul_f16_e32 v6, 0x1400, v2
	v_mul_f16_sdwa v2, v13, v3 dst_sel:DWORD dst_unused:UNUSED_PAD src0_sel:WORD_1 src1_sel:DWORD
	v_fma_f16 v0, v13, v0, -v2
	ds_read2st64_b32 v[2:3], v22 offset0:12 offset1:14
	v_mul_f16_sdwa v0, v0, s2 dst_sel:WORD_1 dst_unused:UNUSED_PAD src0_sel:DWORD src1_sel:DWORD
	v_lshl_add_u64 v[4:5], v[4:5], 0, s[0:1]
	v_or_b32_e32 v0, v0, v6
	global_store_dword v[4:5], v0, off
	s_waitcnt lgkmcnt(0)
	v_lshrrev_b32_e32 v0, 16, v2
	v_mul_f16_sdwa v6, v9, v0 dst_sel:DWORD dst_unused:UNUSED_PAD src0_sel:WORD_1 src1_sel:DWORD
	v_fma_f16 v6, v9, v2, v6
	v_mul_f16_sdwa v2, v9, v2 dst_sel:DWORD dst_unused:UNUSED_PAD src0_sel:WORD_1 src1_sel:DWORD
	v_fma_f16 v0, v9, v0, -v2
	v_mul_f16_e32 v6, 0x1400, v6
	v_mul_f16_sdwa v0, v0, s2 dst_sel:WORD_1 dst_unused:UNUSED_PAD src0_sel:DWORD src1_sel:DWORD
	v_lshl_add_u64 v[4:5], v[4:5], 0, s[0:1]
	v_or_b32_e32 v0, v0, v6
	global_store_dword v[4:5], v0, off
	v_lshrrev_b32_e32 v0, 16, v3
	v_mul_f16_sdwa v2, v1, v0 dst_sel:DWORD dst_unused:UNUSED_PAD src0_sel:WORD_1 src1_sel:DWORD
	v_fma_f16 v2, v1, v3, v2
	v_mul_f16_sdwa v3, v1, v3 dst_sel:DWORD dst_unused:UNUSED_PAD src0_sel:WORD_1 src1_sel:DWORD
	v_fma_f16 v0, v1, v0, -v3
	v_mul_f16_e32 v2, 0x1400, v2
	v_mul_f16_sdwa v0, v0, s2 dst_sel:WORD_1 dst_unused:UNUSED_PAD src0_sel:DWORD src1_sel:DWORD
	s_nop 0
	v_or_b32_e32 v2, v0, v2
	v_lshl_add_u64 v[0:1], v[4:5], 0, s[0:1]
	global_store_dword v[0:1], v2, off
.LBB0_2:
	s_endpgm
	.section	.rodata,"a",@progbits
	.p2align	6, 0x0
	.amdhsa_kernel bluestein_single_back_len1024_dim1_half_op_CI_CI
		.amdhsa_group_segment_fixed_size 4096
		.amdhsa_private_segment_fixed_size 0
		.amdhsa_kernarg_size 104
		.amdhsa_user_sgpr_count 2
		.amdhsa_user_sgpr_dispatch_ptr 0
		.amdhsa_user_sgpr_queue_ptr 0
		.amdhsa_user_sgpr_kernarg_segment_ptr 1
		.amdhsa_user_sgpr_dispatch_id 0
		.amdhsa_user_sgpr_kernarg_preload_length 0
		.amdhsa_user_sgpr_kernarg_preload_offset 0
		.amdhsa_user_sgpr_private_segment_size 0
		.amdhsa_uses_dynamic_stack 0
		.amdhsa_enable_private_segment 0
		.amdhsa_system_sgpr_workgroup_id_x 1
		.amdhsa_system_sgpr_workgroup_id_y 0
		.amdhsa_system_sgpr_workgroup_id_z 0
		.amdhsa_system_sgpr_workgroup_info 0
		.amdhsa_system_vgpr_workitem_id 0
		.amdhsa_next_free_vgpr 50
		.amdhsa_next_free_sgpr 20
		.amdhsa_accum_offset 52
		.amdhsa_reserve_vcc 1
		.amdhsa_float_round_mode_32 0
		.amdhsa_float_round_mode_16_64 0
		.amdhsa_float_denorm_mode_32 3
		.amdhsa_float_denorm_mode_16_64 3
		.amdhsa_dx10_clamp 1
		.amdhsa_ieee_mode 1
		.amdhsa_fp16_overflow 0
		.amdhsa_tg_split 0
		.amdhsa_exception_fp_ieee_invalid_op 0
		.amdhsa_exception_fp_denorm_src 0
		.amdhsa_exception_fp_ieee_div_zero 0
		.amdhsa_exception_fp_ieee_overflow 0
		.amdhsa_exception_fp_ieee_underflow 0
		.amdhsa_exception_fp_ieee_inexact 0
		.amdhsa_exception_int_div_zero 0
	.end_amdhsa_kernel
	.text
.Lfunc_end0:
	.size	bluestein_single_back_len1024_dim1_half_op_CI_CI, .Lfunc_end0-bluestein_single_back_len1024_dim1_half_op_CI_CI
                                        ; -- End function
	.section	.AMDGPU.csdata,"",@progbits
; Kernel info:
; codeLenInByte = 6824
; NumSgprs: 26
; NumVgprs: 50
; NumAgprs: 0
; TotalNumVgprs: 50
; ScratchSize: 0
; MemoryBound: 0
; FloatMode: 240
; IeeeMode: 1
; LDSByteSize: 4096 bytes/workgroup (compile time only)
; SGPRBlocks: 3
; VGPRBlocks: 6
; NumSGPRsForWavesPerEU: 26
; NumVGPRsForWavesPerEU: 50
; AccumOffset: 52
; Occupancy: 8
; WaveLimiterHint : 1
; COMPUTE_PGM_RSRC2:SCRATCH_EN: 0
; COMPUTE_PGM_RSRC2:USER_SGPR: 2
; COMPUTE_PGM_RSRC2:TRAP_HANDLER: 0
; COMPUTE_PGM_RSRC2:TGID_X_EN: 1
; COMPUTE_PGM_RSRC2:TGID_Y_EN: 0
; COMPUTE_PGM_RSRC2:TGID_Z_EN: 0
; COMPUTE_PGM_RSRC2:TIDIG_COMP_CNT: 0
; COMPUTE_PGM_RSRC3_GFX90A:ACCUM_OFFSET: 12
; COMPUTE_PGM_RSRC3_GFX90A:TG_SPLIT: 0
	.text
	.p2alignl 6, 3212836864
	.fill 256, 4, 3212836864
	.type	__hip_cuid_8aa10d190c8d185e,@object ; @__hip_cuid_8aa10d190c8d185e
	.section	.bss,"aw",@nobits
	.globl	__hip_cuid_8aa10d190c8d185e
__hip_cuid_8aa10d190c8d185e:
	.byte	0                               ; 0x0
	.size	__hip_cuid_8aa10d190c8d185e, 1

	.ident	"AMD clang version 19.0.0git (https://github.com/RadeonOpenCompute/llvm-project roc-6.4.0 25133 c7fe45cf4b819c5991fe208aaa96edf142730f1d)"
	.section	".note.GNU-stack","",@progbits
	.addrsig
	.addrsig_sym __hip_cuid_8aa10d190c8d185e
	.amdgpu_metadata
---
amdhsa.kernels:
  - .agpr_count:     0
    .args:
      - .actual_access:  read_only
        .address_space:  global
        .offset:         0
        .size:           8
        .value_kind:     global_buffer
      - .actual_access:  read_only
        .address_space:  global
        .offset:         8
        .size:           8
        .value_kind:     global_buffer
      - .actual_access:  read_only
        .address_space:  global
        .offset:         16
        .size:           8
        .value_kind:     global_buffer
      - .actual_access:  read_only
        .address_space:  global
        .offset:         24
        .size:           8
        .value_kind:     global_buffer
      - .actual_access:  read_only
        .address_space:  global
        .offset:         32
        .size:           8
        .value_kind:     global_buffer
      - .offset:         40
        .size:           8
        .value_kind:     by_value
      - .address_space:  global
        .offset:         48
        .size:           8
        .value_kind:     global_buffer
      - .address_space:  global
        .offset:         56
        .size:           8
        .value_kind:     global_buffer
      - .address_space:  global
        .offset:         64
        .size:           8
        .value_kind:     global_buffer
      - .address_space:  global
        .offset:         72
        .size:           8
        .value_kind:     global_buffer
      - .offset:         80
        .size:           4
        .value_kind:     by_value
      - .address_space:  global
        .offset:         88
        .size:           8
        .value_kind:     global_buffer
      - .address_space:  global
        .offset:         96
        .size:           8
        .value_kind:     global_buffer
    .group_segment_fixed_size: 4096
    .kernarg_segment_align: 8
    .kernarg_segment_size: 104
    .language:       OpenCL C
    .language_version:
      - 2
      - 0
    .max_flat_workgroup_size: 128
    .name:           bluestein_single_back_len1024_dim1_half_op_CI_CI
    .private_segment_fixed_size: 0
    .sgpr_count:     26
    .sgpr_spill_count: 0
    .symbol:         bluestein_single_back_len1024_dim1_half_op_CI_CI.kd
    .uniform_work_group_size: 1
    .uses_dynamic_stack: false
    .vgpr_count:     50
    .vgpr_spill_count: 0
    .wavefront_size: 64
amdhsa.target:   amdgcn-amd-amdhsa--gfx950
amdhsa.version:
  - 1
  - 2
...

	.end_amdgpu_metadata
